;; amdgpu-corpus repo=zjin-lcf/HeCBench kind=compiled arch=gfx1030 opt=O3
	.amdgcn_target "amdgcn-amd-amdhsa--gfx1030"
	.amdhsa_code_object_version 6
	.section	.text._Z21ref_fp32_cvt_e4m3fnuzIhfEvPT_PKT0_i,"axG",@progbits,_Z21ref_fp32_cvt_e4m3fnuzIhfEvPT_PKT0_i,comdat
	.protected	_Z21ref_fp32_cvt_e4m3fnuzIhfEvPT_PKT0_i ; -- Begin function _Z21ref_fp32_cvt_e4m3fnuzIhfEvPT_PKT0_i
	.globl	_Z21ref_fp32_cvt_e4m3fnuzIhfEvPT_PKT0_i
	.p2align	8
	.type	_Z21ref_fp32_cvt_e4m3fnuzIhfEvPT_PKT0_i,@function
_Z21ref_fp32_cvt_e4m3fnuzIhfEvPT_PKT0_i: ; @_Z21ref_fp32_cvt_e4m3fnuzIhfEvPT_PKT0_i
; %bb.0:
	s_clause 0x1
	s_load_dword s0, s[4:5], 0x24
	s_load_dword s1, s[4:5], 0x10
	s_waitcnt lgkmcnt(0)
	s_and_b32 s0, s0, 0xffff
	v_mad_u64_u32 v[0:1], null, s6, s0, v[0:1]
	s_mov_b32 s0, exec_lo
	v_cmpx_gt_i32_e64 s1, v0
	s_cbranch_execz .LBB0_8
; %bb.1:
	s_load_dwordx4 s[0:3], s[4:5], 0x0
	v_ashrrev_i32_e32 v1, 31, v0
	v_mov_b32_e32 v4, 0x80
	v_lshlrev_b64 v[2:3], 2, v[0:1]
	s_waitcnt lgkmcnt(0)
	v_add_co_u32 v2, vcc_lo, s2, v2
	v_add_co_ci_u32_e64 v3, null, s3, v3, vcc_lo
	s_mov_b32 s2, exec_lo
	global_load_dword v2, v[2:3], off
	s_waitcnt vmcnt(0)
	v_and_b32_e32 v3, 0x7fffffff, v2
	v_cmpx_gt_u32_e32 0x43800000, v3
	s_cbranch_execz .LBB0_7
; %bb.2:
	v_cmp_lt_u32_e32 vcc_lo, 0x3bffffff, v3
	s_mov_b32 s3, 0
                                        ; implicit-def: $vgpr3
	s_and_saveexec_b32 s4, vcc_lo
	s_xor_b32 s4, exec_lo, s4
	s_cbranch_execnz .LBB0_9
; %bb.3:
	s_andn2_saveexec_b32 s4, s4
	s_cbranch_execnz .LBB0_10
.LBB0_4:
	s_or_b32 exec_lo, exec_lo, s4
	v_mov_b32_e32 v4, 0
	s_and_saveexec_b32 s4, s3
.LBB0_5:
	v_lshrrev_b32_e32 v2, 24, v2
	v_and_or_b32 v4, 0x80, v2, v3
.LBB0_6:
	s_or_b32 exec_lo, exec_lo, s4
.LBB0_7:
	s_or_b32 exec_lo, exec_lo, s2
	v_add_co_u32 v0, vcc_lo, s0, v0
	v_add_co_ci_u32_e64 v1, null, s1, v1, vcc_lo
	global_store_byte v[0:1], v4, off
.LBB0_8:
	s_endpgm
.LBB0_9:
	v_bfe_u32 v3, v2, 20, 1
	s_mov_b32 s3, exec_lo
	v_add3_u32 v3, v2, v3, 0x487ffff
	v_lshrrev_b32_e32 v3, 20, v3
	s_andn2_saveexec_b32 s4, s4
	s_cbranch_execz .LBB0_4
.LBB0_10:
	v_add_f32_e64 v3, 0x46000000, |v2|
	s_andn2_b32 s3, s3, exec_lo
	v_and_b32_e32 v3, 0xff, v3
	v_cmp_ne_u32_e32 vcc_lo, 0, v3
	s_and_b32 s5, vcc_lo, exec_lo
	s_or_b32 s3, s3, s5
	s_or_b32 exec_lo, exec_lo, s4
	v_mov_b32_e32 v4, 0
	s_and_saveexec_b32 s4, s3
	s_cbranch_execnz .LBB0_5
	s_branch .LBB0_6
	.section	.rodata,"a",@progbits
	.p2align	6, 0x0
	.amdhsa_kernel _Z21ref_fp32_cvt_e4m3fnuzIhfEvPT_PKT0_i
		.amdhsa_group_segment_fixed_size 0
		.amdhsa_private_segment_fixed_size 0
		.amdhsa_kernarg_size 280
		.amdhsa_user_sgpr_count 6
		.amdhsa_user_sgpr_private_segment_buffer 1
		.amdhsa_user_sgpr_dispatch_ptr 0
		.amdhsa_user_sgpr_queue_ptr 0
		.amdhsa_user_sgpr_kernarg_segment_ptr 1
		.amdhsa_user_sgpr_dispatch_id 0
		.amdhsa_user_sgpr_flat_scratch_init 0
		.amdhsa_user_sgpr_private_segment_size 0
		.amdhsa_wavefront_size32 1
		.amdhsa_uses_dynamic_stack 0
		.amdhsa_system_sgpr_private_segment_wavefront_offset 0
		.amdhsa_system_sgpr_workgroup_id_x 1
		.amdhsa_system_sgpr_workgroup_id_y 0
		.amdhsa_system_sgpr_workgroup_id_z 0
		.amdhsa_system_sgpr_workgroup_info 0
		.amdhsa_system_vgpr_workitem_id 0
		.amdhsa_next_free_vgpr 5
		.amdhsa_next_free_sgpr 7
		.amdhsa_reserve_vcc 1
		.amdhsa_reserve_flat_scratch 0
		.amdhsa_float_round_mode_32 0
		.amdhsa_float_round_mode_16_64 0
		.amdhsa_float_denorm_mode_32 3
		.amdhsa_float_denorm_mode_16_64 3
		.amdhsa_dx10_clamp 1
		.amdhsa_ieee_mode 1
		.amdhsa_fp16_overflow 0
		.amdhsa_workgroup_processor_mode 1
		.amdhsa_memory_ordered 1
		.amdhsa_forward_progress 1
		.amdhsa_shared_vgpr_count 0
		.amdhsa_exception_fp_ieee_invalid_op 0
		.amdhsa_exception_fp_denorm_src 0
		.amdhsa_exception_fp_ieee_div_zero 0
		.amdhsa_exception_fp_ieee_overflow 0
		.amdhsa_exception_fp_ieee_underflow 0
		.amdhsa_exception_fp_ieee_inexact 0
		.amdhsa_exception_int_div_zero 0
	.end_amdhsa_kernel
	.section	.text._Z21ref_fp32_cvt_e4m3fnuzIhfEvPT_PKT0_i,"axG",@progbits,_Z21ref_fp32_cvt_e4m3fnuzIhfEvPT_PKT0_i,comdat
.Lfunc_end0:
	.size	_Z21ref_fp32_cvt_e4m3fnuzIhfEvPT_PKT0_i, .Lfunc_end0-_Z21ref_fp32_cvt_e4m3fnuzIhfEvPT_PKT0_i
                                        ; -- End function
	.set _Z21ref_fp32_cvt_e4m3fnuzIhfEvPT_PKT0_i.num_vgpr, 5
	.set _Z21ref_fp32_cvt_e4m3fnuzIhfEvPT_PKT0_i.num_agpr, 0
	.set _Z21ref_fp32_cvt_e4m3fnuzIhfEvPT_PKT0_i.numbered_sgpr, 7
	.set _Z21ref_fp32_cvt_e4m3fnuzIhfEvPT_PKT0_i.num_named_barrier, 0
	.set _Z21ref_fp32_cvt_e4m3fnuzIhfEvPT_PKT0_i.private_seg_size, 0
	.set _Z21ref_fp32_cvt_e4m3fnuzIhfEvPT_PKT0_i.uses_vcc, 1
	.set _Z21ref_fp32_cvt_e4m3fnuzIhfEvPT_PKT0_i.uses_flat_scratch, 0
	.set _Z21ref_fp32_cvt_e4m3fnuzIhfEvPT_PKT0_i.has_dyn_sized_stack, 0
	.set _Z21ref_fp32_cvt_e4m3fnuzIhfEvPT_PKT0_i.has_recursion, 0
	.set _Z21ref_fp32_cvt_e4m3fnuzIhfEvPT_PKT0_i.has_indirect_call, 0
	.section	.AMDGPU.csdata,"",@progbits
; Kernel info:
; codeLenInByte = 328
; TotalNumSgprs: 9
; NumVgprs: 5
; ScratchSize: 0
; MemoryBound: 0
; FloatMode: 240
; IeeeMode: 1
; LDSByteSize: 0 bytes/workgroup (compile time only)
; SGPRBlocks: 0
; VGPRBlocks: 0
; NumSGPRsForWavesPerEU: 9
; NumVGPRsForWavesPerEU: 5
; Occupancy: 16
; WaveLimiterHint : 0
; COMPUTE_PGM_RSRC2:SCRATCH_EN: 0
; COMPUTE_PGM_RSRC2:USER_SGPR: 6
; COMPUTE_PGM_RSRC2:TRAP_HANDLER: 0
; COMPUTE_PGM_RSRC2:TGID_X_EN: 1
; COMPUTE_PGM_RSRC2:TGID_Y_EN: 0
; COMPUTE_PGM_RSRC2:TGID_Z_EN: 0
; COMPUTE_PGM_RSRC2:TIDIG_COMP_CNT: 0
	.section	.text._Z13fp32_cvt_e4m3IhfEvPT_PKT0_i,"axG",@progbits,_Z13fp32_cvt_e4m3IhfEvPT_PKT0_i,comdat
	.protected	_Z13fp32_cvt_e4m3IhfEvPT_PKT0_i ; -- Begin function _Z13fp32_cvt_e4m3IhfEvPT_PKT0_i
	.globl	_Z13fp32_cvt_e4m3IhfEvPT_PKT0_i
	.p2align	8
	.type	_Z13fp32_cvt_e4m3IhfEvPT_PKT0_i,@function
_Z13fp32_cvt_e4m3IhfEvPT_PKT0_i:        ; @_Z13fp32_cvt_e4m3IhfEvPT_PKT0_i
; %bb.0:
	s_clause 0x1
	s_load_dword s0, s[4:5], 0x24
	s_load_dword s1, s[4:5], 0x10
	s_waitcnt lgkmcnt(0)
	s_and_b32 s0, s0, 0xffff
	v_mad_u64_u32 v[0:1], null, s6, s0, v[0:1]
	s_mov_b32 s0, exec_lo
	v_cmpx_gt_i32_e64 s1, v0
	s_cbranch_execz .LBB1_14
; %bb.1:
	s_load_dwordx4 s[4:7], s[4:5], 0x0
	v_ashrrev_i32_e32 v1, 31, v0
	v_lshlrev_b64 v[2:3], 2, v[0:1]
	s_waitcnt lgkmcnt(0)
	v_add_co_u32 v2, vcc_lo, s6, v2
	v_add_co_ci_u32_e64 v3, null, s7, v3, vcc_lo
	global_load_dword v4, v[2:3], off
	v_mov_b32_e32 v3, 0
	s_waitcnt vmcnt(0)
	v_and_b32_e32 v2, 0x7f800000, v4
	v_cmp_ne_u64_e32 vcc_lo, 0x7f800000, v[2:3]
	v_mov_b32_e32 v2, 0x80
	s_and_saveexec_b32 s2, vcc_lo
	s_cbranch_execz .LBB1_13
; %bb.2:
	v_and_b32_e32 v2, 0x7fffffff, v4
	v_cmp_gt_u64_e32 vcc_lo, 0x43700001, v[2:3]
                                        ; implicit-def: $vgpr2
	s_and_saveexec_b32 s0, vcc_lo
	s_xor_b32 s3, exec_lo, s0
	s_cbranch_execz .LBB1_10
; %bb.3:
	v_mov_b32_e32 v2, 0
	s_mov_b32 s6, exec_lo
	v_cmpx_ne_u32_e32 0, v4
	s_cbranch_execz .LBB1_9
; %bb.4:
	v_bfe_u32 v7, v4, 23, 8
	v_and_b32_e32 v5, 0x7fffff, v4
	v_mov_b32_e32 v3, 0
	v_sub_nc_u32_e64 v2, 0x78, v7 clamp
	v_cmp_eq_u32_e32 vcc_lo, 0, v7
	v_add_nc_u32_e32 v7, 0xffffff89, v7
	v_cndmask_b32_e64 v11, v2, 0x77, vcc_lo
	v_or_b32_e32 v2, 0x800000, v5
	v_add_nc_u32_e32 v6, 20, v11
	v_cndmask_b32_e32 v2, v2, v5, vcc_lo
	v_add_nc_u32_e32 v10, 19, v11
	v_lshlrev_b64 v[5:6], v6, -1
	v_lshrrev_b64 v[8:9], v11, v[2:3]
	v_lshlrev_b64 v[9:10], v10, 1
	v_bfi_b32 v6, v6, 0, 0
	v_bfi_b32 v5, v5, 0, v2
	v_and_b32_e32 v2, 0x100000, v8
	v_cmp_eq_u64_e64 s0, v[5:6], v[9:10]
	v_cmp_eq_u64_e64 s1, 0, v[2:3]
	v_cndmask_b32_e64 v2, v7, 0xffffff8a, vcc_lo
	v_lshrrev_b32_e32 v5, 23, v8
	s_and_b32 vcc_lo, s0, s1
	v_add3_u32 v6, v2, v11, v5
	v_subrev_co_ci_u32_e64 v7, null, 0, v8, vcc_lo
	s_mov_b32 s0, exec_lo
                                        ; implicit-def: $vgpr5
	v_and_b32_e32 v2, 0xfffff, v7
	v_add_nc_u32_e32 v7, -1, v6
	v_add_nc_u32_e32 v2, v2, v8
	v_cmpx_ne_u32_e32 0, v7
	s_xor_b32 s0, exec_lo, s0
; %bb.5:
	v_and_b32_e32 v8, 0x1000000, v2
	v_mov_b32_e32 v9, v3
	v_bfe_u32 v5, v2, 24, 1
	v_cmp_eq_u64_e32 vcc_lo, 0, v[8:9]
	v_lshrrev_b64 v[2:3], v5, v[2:3]
	v_cndmask_b32_e32 v5, v6, v7, vcc_lo
; %bb.6:
	s_andn2_saveexec_b32 s0, s0
; %bb.7:
	v_bfe_u32 v5, v2, 23, 1
; %bb.8:
	s_or_b32 exec_lo, exec_lo, s0
	v_mov_b32_e32 v6, 0x80
	v_lshrrev_b64 v[2:3], 20, v[2:3]
	v_cmp_gt_i32_e32 vcc_lo, 16, v5
	v_cmp_eq_u32_e64 s0, 0, v5
	v_and_b32_sdwa v4, v4, v6 dst_sel:DWORD dst_unused:UNUSED_PAD src0_sel:BYTE_3 src1_sel:DWORD
	v_min_i32_e32 v6, 15, v5
	v_cndmask_b32_e32 v3, 0, v3, vcc_lo
	v_cndmask_b32_e32 v2, 7, v2, vcc_lo
	v_lshl_or_b32 v4, v6, 3, v4
	v_cmp_eq_u64_e32 vcc_lo, 0, v[2:3]
	v_and_or_b32 v2, v2, 7, v4
	s_and_b32 s0, s0, vcc_lo
	v_cndmask_b32_e64 v2, v2, 0, s0
.LBB1_9:
	s_or_b32 exec_lo, exec_lo, s6
                                        ; implicit-def: $vgpr4
.LBB1_10:
	s_andn2_saveexec_b32 s0, s3
; %bb.11:
	v_mov_b32_e32 v2, 0x7f
	v_or_b32_sdwa v2, v4, v2 dst_sel:DWORD dst_unused:UNUSED_PAD src0_sel:BYTE_3 src1_sel:DWORD
; %bb.12:
	s_or_b32 exec_lo, exec_lo, s0
.LBB1_13:
	s_or_b32 exec_lo, exec_lo, s2
	v_add_co_u32 v0, vcc_lo, s4, v0
	v_add_co_ci_u32_e64 v1, null, s5, v1, vcc_lo
	global_store_byte v[0:1], v2, off
.LBB1_14:
	s_endpgm
	.section	.rodata,"a",@progbits
	.p2align	6, 0x0
	.amdhsa_kernel _Z13fp32_cvt_e4m3IhfEvPT_PKT0_i
		.amdhsa_group_segment_fixed_size 0
		.amdhsa_private_segment_fixed_size 0
		.amdhsa_kernarg_size 280
		.amdhsa_user_sgpr_count 6
		.amdhsa_user_sgpr_private_segment_buffer 1
		.amdhsa_user_sgpr_dispatch_ptr 0
		.amdhsa_user_sgpr_queue_ptr 0
		.amdhsa_user_sgpr_kernarg_segment_ptr 1
		.amdhsa_user_sgpr_dispatch_id 0
		.amdhsa_user_sgpr_flat_scratch_init 0
		.amdhsa_user_sgpr_private_segment_size 0
		.amdhsa_wavefront_size32 1
		.amdhsa_uses_dynamic_stack 0
		.amdhsa_system_sgpr_private_segment_wavefront_offset 0
		.amdhsa_system_sgpr_workgroup_id_x 1
		.amdhsa_system_sgpr_workgroup_id_y 0
		.amdhsa_system_sgpr_workgroup_id_z 0
		.amdhsa_system_sgpr_workgroup_info 0
		.amdhsa_system_vgpr_workitem_id 0
		.amdhsa_next_free_vgpr 12
		.amdhsa_next_free_sgpr 8
		.amdhsa_reserve_vcc 1
		.amdhsa_reserve_flat_scratch 0
		.amdhsa_float_round_mode_32 0
		.amdhsa_float_round_mode_16_64 0
		.amdhsa_float_denorm_mode_32 3
		.amdhsa_float_denorm_mode_16_64 3
		.amdhsa_dx10_clamp 1
		.amdhsa_ieee_mode 1
		.amdhsa_fp16_overflow 0
		.amdhsa_workgroup_processor_mode 1
		.amdhsa_memory_ordered 1
		.amdhsa_forward_progress 1
		.amdhsa_shared_vgpr_count 0
		.amdhsa_exception_fp_ieee_invalid_op 0
		.amdhsa_exception_fp_denorm_src 0
		.amdhsa_exception_fp_ieee_div_zero 0
		.amdhsa_exception_fp_ieee_overflow 0
		.amdhsa_exception_fp_ieee_underflow 0
		.amdhsa_exception_fp_ieee_inexact 0
		.amdhsa_exception_int_div_zero 0
	.end_amdhsa_kernel
	.section	.text._Z13fp32_cvt_e4m3IhfEvPT_PKT0_i,"axG",@progbits,_Z13fp32_cvt_e4m3IhfEvPT_PKT0_i,comdat
.Lfunc_end1:
	.size	_Z13fp32_cvt_e4m3IhfEvPT_PKT0_i, .Lfunc_end1-_Z13fp32_cvt_e4m3IhfEvPT_PKT0_i
                                        ; -- End function
	.set _Z13fp32_cvt_e4m3IhfEvPT_PKT0_i.num_vgpr, 12
	.set _Z13fp32_cvt_e4m3IhfEvPT_PKT0_i.num_agpr, 0
	.set _Z13fp32_cvt_e4m3IhfEvPT_PKT0_i.numbered_sgpr, 8
	.set _Z13fp32_cvt_e4m3IhfEvPT_PKT0_i.num_named_barrier, 0
	.set _Z13fp32_cvt_e4m3IhfEvPT_PKT0_i.private_seg_size, 0
	.set _Z13fp32_cvt_e4m3IhfEvPT_PKT0_i.uses_vcc, 1
	.set _Z13fp32_cvt_e4m3IhfEvPT_PKT0_i.uses_flat_scratch, 0
	.set _Z13fp32_cvt_e4m3IhfEvPT_PKT0_i.has_dyn_sized_stack, 0
	.set _Z13fp32_cvt_e4m3IhfEvPT_PKT0_i.has_recursion, 0
	.set _Z13fp32_cvt_e4m3IhfEvPT_PKT0_i.has_indirect_call, 0
	.section	.AMDGPU.csdata,"",@progbits
; Kernel info:
; codeLenInByte = 584
; TotalNumSgprs: 10
; NumVgprs: 12
; ScratchSize: 0
; MemoryBound: 0
; FloatMode: 240
; IeeeMode: 1
; LDSByteSize: 0 bytes/workgroup (compile time only)
; SGPRBlocks: 0
; VGPRBlocks: 1
; NumSGPRsForWavesPerEU: 10
; NumVGPRsForWavesPerEU: 12
; Occupancy: 16
; WaveLimiterHint : 0
; COMPUTE_PGM_RSRC2:SCRATCH_EN: 0
; COMPUTE_PGM_RSRC2:USER_SGPR: 6
; COMPUTE_PGM_RSRC2:TRAP_HANDLER: 0
; COMPUTE_PGM_RSRC2:TGID_X_EN: 1
; COMPUTE_PGM_RSRC2:TGID_Y_EN: 0
; COMPUTE_PGM_RSRC2:TGID_Z_EN: 0
; COMPUTE_PGM_RSRC2:TIDIG_COMP_CNT: 0
	.section	.text._Z21ref_fp32_cvt_e5m2fnuzIhfEvPT_PKT0_i,"axG",@progbits,_Z21ref_fp32_cvt_e5m2fnuzIhfEvPT_PKT0_i,comdat
	.protected	_Z21ref_fp32_cvt_e5m2fnuzIhfEvPT_PKT0_i ; -- Begin function _Z21ref_fp32_cvt_e5m2fnuzIhfEvPT_PKT0_i
	.globl	_Z21ref_fp32_cvt_e5m2fnuzIhfEvPT_PKT0_i
	.p2align	8
	.type	_Z21ref_fp32_cvt_e5m2fnuzIhfEvPT_PKT0_i,@function
_Z21ref_fp32_cvt_e5m2fnuzIhfEvPT_PKT0_i: ; @_Z21ref_fp32_cvt_e5m2fnuzIhfEvPT_PKT0_i
; %bb.0:
	s_clause 0x1
	s_load_dword s0, s[4:5], 0x24
	s_load_dword s1, s[4:5], 0x10
	s_waitcnt lgkmcnt(0)
	s_and_b32 s0, s0, 0xffff
	v_mad_u64_u32 v[0:1], null, s6, s0, v[0:1]
	s_mov_b32 s0, exec_lo
	v_cmpx_gt_i32_e64 s1, v0
	s_cbranch_execz .LBB2_8
; %bb.1:
	s_load_dwordx4 s[0:3], s[4:5], 0x0
	v_ashrrev_i32_e32 v1, 31, v0
	v_mov_b32_e32 v4, 0x80
	v_lshlrev_b64 v[2:3], 2, v[0:1]
	s_waitcnt lgkmcnt(0)
	v_add_co_u32 v2, vcc_lo, s2, v2
	v_add_co_ci_u32_e64 v3, null, s3, v3, vcc_lo
	s_mov_b32 s2, exec_lo
	global_load_dword v2, v[2:3], off
	s_waitcnt vmcnt(0)
	v_and_b32_e32 v3, 0x7fffffff, v2
	v_cmpx_gt_u32_e32 0x47800000, v3
	s_cbranch_execz .LBB2_7
; %bb.2:
	v_cmp_lt_u32_e32 vcc_lo, 0x37ffffff, v3
	s_mov_b32 s3, 0
                                        ; implicit-def: $vgpr3
	s_and_saveexec_b32 s4, vcc_lo
	s_xor_b32 s4, exec_lo, s4
	s_cbranch_execnz .LBB2_9
; %bb.3:
	s_andn2_saveexec_b32 s4, s4
	s_cbranch_execnz .LBB2_10
.LBB2_4:
	s_or_b32 exec_lo, exec_lo, s4
	v_mov_b32_e32 v4, 0
	s_and_saveexec_b32 s4, s3
.LBB2_5:
	v_lshrrev_b32_e32 v2, 24, v2
	v_and_or_b32 v4, 0x80, v2, v3
.LBB2_6:
	s_or_b32 exec_lo, exec_lo, s4
.LBB2_7:
	s_or_b32 exec_lo, exec_lo, s2
	v_add_co_u32 v0, vcc_lo, s0, v0
	v_add_co_ci_u32_e64 v1, null, s1, v1, vcc_lo
	global_store_byte v[0:1], v4, off
.LBB2_8:
	s_endpgm
.LBB2_9:
	v_bfe_u32 v3, v2, 21, 1
	s_mov_b32 s3, exec_lo
	v_add3_u32 v3, v2, v3, 0x88fffff
	v_lshrrev_b32_e32 v3, 21, v3
	s_andn2_saveexec_b32 s4, s4
	s_cbranch_execz .LBB2_4
.LBB2_10:
	v_add_f32_e64 v3, 0x42800000, |v2|
	s_andn2_b32 s3, s3, exec_lo
	v_and_b32_e32 v3, 0xff, v3
	v_cmp_ne_u32_e32 vcc_lo, 0, v3
	s_and_b32 s5, vcc_lo, exec_lo
	s_or_b32 s3, s3, s5
	s_or_b32 exec_lo, exec_lo, s4
	v_mov_b32_e32 v4, 0
	s_and_saveexec_b32 s4, s3
	s_cbranch_execnz .LBB2_5
	s_branch .LBB2_6
	.section	.rodata,"a",@progbits
	.p2align	6, 0x0
	.amdhsa_kernel _Z21ref_fp32_cvt_e5m2fnuzIhfEvPT_PKT0_i
		.amdhsa_group_segment_fixed_size 0
		.amdhsa_private_segment_fixed_size 0
		.amdhsa_kernarg_size 280
		.amdhsa_user_sgpr_count 6
		.amdhsa_user_sgpr_private_segment_buffer 1
		.amdhsa_user_sgpr_dispatch_ptr 0
		.amdhsa_user_sgpr_queue_ptr 0
		.amdhsa_user_sgpr_kernarg_segment_ptr 1
		.amdhsa_user_sgpr_dispatch_id 0
		.amdhsa_user_sgpr_flat_scratch_init 0
		.amdhsa_user_sgpr_private_segment_size 0
		.amdhsa_wavefront_size32 1
		.amdhsa_uses_dynamic_stack 0
		.amdhsa_system_sgpr_private_segment_wavefront_offset 0
		.amdhsa_system_sgpr_workgroup_id_x 1
		.amdhsa_system_sgpr_workgroup_id_y 0
		.amdhsa_system_sgpr_workgroup_id_z 0
		.amdhsa_system_sgpr_workgroup_info 0
		.amdhsa_system_vgpr_workitem_id 0
		.amdhsa_next_free_vgpr 5
		.amdhsa_next_free_sgpr 7
		.amdhsa_reserve_vcc 1
		.amdhsa_reserve_flat_scratch 0
		.amdhsa_float_round_mode_32 0
		.amdhsa_float_round_mode_16_64 0
		.amdhsa_float_denorm_mode_32 3
		.amdhsa_float_denorm_mode_16_64 3
		.amdhsa_dx10_clamp 1
		.amdhsa_ieee_mode 1
		.amdhsa_fp16_overflow 0
		.amdhsa_workgroup_processor_mode 1
		.amdhsa_memory_ordered 1
		.amdhsa_forward_progress 1
		.amdhsa_shared_vgpr_count 0
		.amdhsa_exception_fp_ieee_invalid_op 0
		.amdhsa_exception_fp_denorm_src 0
		.amdhsa_exception_fp_ieee_div_zero 0
		.amdhsa_exception_fp_ieee_overflow 0
		.amdhsa_exception_fp_ieee_underflow 0
		.amdhsa_exception_fp_ieee_inexact 0
		.amdhsa_exception_int_div_zero 0
	.end_amdhsa_kernel
	.section	.text._Z21ref_fp32_cvt_e5m2fnuzIhfEvPT_PKT0_i,"axG",@progbits,_Z21ref_fp32_cvt_e5m2fnuzIhfEvPT_PKT0_i,comdat
.Lfunc_end2:
	.size	_Z21ref_fp32_cvt_e5m2fnuzIhfEvPT_PKT0_i, .Lfunc_end2-_Z21ref_fp32_cvt_e5m2fnuzIhfEvPT_PKT0_i
                                        ; -- End function
	.set _Z21ref_fp32_cvt_e5m2fnuzIhfEvPT_PKT0_i.num_vgpr, 5
	.set _Z21ref_fp32_cvt_e5m2fnuzIhfEvPT_PKT0_i.num_agpr, 0
	.set _Z21ref_fp32_cvt_e5m2fnuzIhfEvPT_PKT0_i.numbered_sgpr, 7
	.set _Z21ref_fp32_cvt_e5m2fnuzIhfEvPT_PKT0_i.num_named_barrier, 0
	.set _Z21ref_fp32_cvt_e5m2fnuzIhfEvPT_PKT0_i.private_seg_size, 0
	.set _Z21ref_fp32_cvt_e5m2fnuzIhfEvPT_PKT0_i.uses_vcc, 1
	.set _Z21ref_fp32_cvt_e5m2fnuzIhfEvPT_PKT0_i.uses_flat_scratch, 0
	.set _Z21ref_fp32_cvt_e5m2fnuzIhfEvPT_PKT0_i.has_dyn_sized_stack, 0
	.set _Z21ref_fp32_cvt_e5m2fnuzIhfEvPT_PKT0_i.has_recursion, 0
	.set _Z21ref_fp32_cvt_e5m2fnuzIhfEvPT_PKT0_i.has_indirect_call, 0
	.section	.AMDGPU.csdata,"",@progbits
; Kernel info:
; codeLenInByte = 328
; TotalNumSgprs: 9
; NumVgprs: 5
; ScratchSize: 0
; MemoryBound: 0
; FloatMode: 240
; IeeeMode: 1
; LDSByteSize: 0 bytes/workgroup (compile time only)
; SGPRBlocks: 0
; VGPRBlocks: 0
; NumSGPRsForWavesPerEU: 9
; NumVGPRsForWavesPerEU: 5
; Occupancy: 16
; WaveLimiterHint : 0
; COMPUTE_PGM_RSRC2:SCRATCH_EN: 0
; COMPUTE_PGM_RSRC2:USER_SGPR: 6
; COMPUTE_PGM_RSRC2:TRAP_HANDLER: 0
; COMPUTE_PGM_RSRC2:TGID_X_EN: 1
; COMPUTE_PGM_RSRC2:TGID_Y_EN: 0
; COMPUTE_PGM_RSRC2:TGID_Z_EN: 0
; COMPUTE_PGM_RSRC2:TIDIG_COMP_CNT: 0
	.section	.text._Z13fp32_cvt_e5m2IhfEvPT_PKT0_i,"axG",@progbits,_Z13fp32_cvt_e5m2IhfEvPT_PKT0_i,comdat
	.protected	_Z13fp32_cvt_e5m2IhfEvPT_PKT0_i ; -- Begin function _Z13fp32_cvt_e5m2IhfEvPT_PKT0_i
	.globl	_Z13fp32_cvt_e5m2IhfEvPT_PKT0_i
	.p2align	8
	.type	_Z13fp32_cvt_e5m2IhfEvPT_PKT0_i,@function
_Z13fp32_cvt_e5m2IhfEvPT_PKT0_i:        ; @_Z13fp32_cvt_e5m2IhfEvPT_PKT0_i
; %bb.0:
	s_clause 0x1
	s_load_dword s0, s[4:5], 0x24
	s_load_dword s1, s[4:5], 0x10
	s_waitcnt lgkmcnt(0)
	s_and_b32 s0, s0, 0xffff
	v_mad_u64_u32 v[0:1], null, s6, s0, v[0:1]
	s_mov_b32 s0, exec_lo
	v_cmpx_gt_i32_e64 s1, v0
	s_cbranch_execz .LBB3_14
; %bb.1:
	s_load_dwordx4 s[4:7], s[4:5], 0x0
	v_ashrrev_i32_e32 v1, 31, v0
	v_lshlrev_b64 v[2:3], 2, v[0:1]
	s_waitcnt lgkmcnt(0)
	v_add_co_u32 v2, vcc_lo, s6, v2
	v_add_co_ci_u32_e64 v3, null, s7, v3, vcc_lo
	global_load_dword v4, v[2:3], off
	v_mov_b32_e32 v3, 0
	s_waitcnt vmcnt(0)
	v_and_b32_e32 v2, 0x7f800000, v4
	v_cmp_ne_u64_e32 vcc_lo, 0x7f800000, v[2:3]
	v_mov_b32_e32 v2, 0x80
	s_and_saveexec_b32 s2, vcc_lo
	s_cbranch_execz .LBB3_13
; %bb.2:
	v_and_b32_e32 v2, 0x7fffffff, v4
	v_cmp_gt_u64_e32 vcc_lo, 0x47600001, v[2:3]
                                        ; implicit-def: $vgpr2
	s_and_saveexec_b32 s0, vcc_lo
	s_xor_b32 s3, exec_lo, s0
	s_cbranch_execz .LBB3_10
; %bb.3:
	v_mov_b32_e32 v2, 0
	s_mov_b32 s6, exec_lo
	v_cmpx_ne_u32_e32 0, v4
	s_cbranch_execz .LBB3_9
; %bb.4:
	v_bfe_u32 v7, v4, 23, 8
	v_and_b32_e32 v5, 0x7fffff, v4
	v_mov_b32_e32 v3, 0
	v_sub_nc_u32_e64 v2, 0x70, v7 clamp
	v_cmp_eq_u32_e32 vcc_lo, 0, v7
	v_add_nc_u32_e32 v7, 0xffffff91, v7
	v_cndmask_b32_e64 v11, v2, 0x6f, vcc_lo
	v_or_b32_e32 v2, 0x800000, v5
	v_add_nc_u32_e32 v6, 21, v11
	v_cndmask_b32_e32 v2, v2, v5, vcc_lo
	v_add_nc_u32_e32 v10, 20, v11
	v_lshlrev_b64 v[5:6], v6, -1
	v_lshrrev_b64 v[8:9], v11, v[2:3]
	v_lshlrev_b64 v[9:10], v10, 1
	v_bfi_b32 v6, v6, 0, 0
	v_bfi_b32 v5, v5, 0, v2
	v_and_b32_e32 v2, 0x200000, v8
	v_cmp_eq_u64_e64 s0, v[5:6], v[9:10]
	v_cmp_eq_u64_e64 s1, 0, v[2:3]
	v_cndmask_b32_e64 v2, v7, 0xffffff92, vcc_lo
	v_lshrrev_b32_e32 v5, 23, v8
	s_and_b32 vcc_lo, s0, s1
	v_add3_u32 v6, v2, v11, v5
	v_subrev_co_ci_u32_e64 v7, null, 0, v8, vcc_lo
	s_mov_b32 s0, exec_lo
                                        ; implicit-def: $vgpr5
	v_and_b32_e32 v2, 0x1fffff, v7
	v_add_nc_u32_e32 v7, -1, v6
	v_add_nc_u32_e32 v2, v2, v8
	v_cmpx_ne_u32_e32 0, v7
	s_xor_b32 s0, exec_lo, s0
; %bb.5:
	v_and_b32_e32 v8, 0x1000000, v2
	v_mov_b32_e32 v9, v3
	v_bfe_u32 v5, v2, 24, 1
	v_cmp_eq_u64_e32 vcc_lo, 0, v[8:9]
	v_lshrrev_b64 v[2:3], v5, v[2:3]
	v_cndmask_b32_e32 v5, v6, v7, vcc_lo
; %bb.6:
	s_andn2_saveexec_b32 s0, s0
; %bb.7:
	v_bfe_u32 v5, v2, 23, 1
; %bb.8:
	s_or_b32 exec_lo, exec_lo, s0
	v_mov_b32_e32 v6, 0x80
	v_lshrrev_b64 v[2:3], 21, v[2:3]
	v_cmp_gt_i32_e32 vcc_lo, 32, v5
	v_cmp_eq_u32_e64 s0, 0, v5
	v_and_b32_sdwa v4, v4, v6 dst_sel:DWORD dst_unused:UNUSED_PAD src0_sel:BYTE_3 src1_sel:DWORD
	v_min_i32_e32 v6, 31, v5
	v_cndmask_b32_e32 v3, 0, v3, vcc_lo
	v_cndmask_b32_e32 v2, 3, v2, vcc_lo
	v_lshl_or_b32 v4, v6, 2, v4
	v_cmp_eq_u64_e32 vcc_lo, 0, v[2:3]
	v_and_or_b32 v2, v2, 3, v4
	s_and_b32 s0, s0, vcc_lo
	v_cndmask_b32_e64 v2, v2, 0, s0
.LBB3_9:
	s_or_b32 exec_lo, exec_lo, s6
                                        ; implicit-def: $vgpr4
.LBB3_10:
	s_andn2_saveexec_b32 s0, s3
; %bb.11:
	v_mov_b32_e32 v2, 0x7f
	v_or_b32_sdwa v2, v4, v2 dst_sel:DWORD dst_unused:UNUSED_PAD src0_sel:BYTE_3 src1_sel:DWORD
; %bb.12:
	s_or_b32 exec_lo, exec_lo, s0
.LBB3_13:
	s_or_b32 exec_lo, exec_lo, s2
	v_add_co_u32 v0, vcc_lo, s4, v0
	v_add_co_ci_u32_e64 v1, null, s5, v1, vcc_lo
	global_store_byte v[0:1], v2, off
.LBB3_14:
	s_endpgm
	.section	.rodata,"a",@progbits
	.p2align	6, 0x0
	.amdhsa_kernel _Z13fp32_cvt_e5m2IhfEvPT_PKT0_i
		.amdhsa_group_segment_fixed_size 0
		.amdhsa_private_segment_fixed_size 0
		.amdhsa_kernarg_size 280
		.amdhsa_user_sgpr_count 6
		.amdhsa_user_sgpr_private_segment_buffer 1
		.amdhsa_user_sgpr_dispatch_ptr 0
		.amdhsa_user_sgpr_queue_ptr 0
		.amdhsa_user_sgpr_kernarg_segment_ptr 1
		.amdhsa_user_sgpr_dispatch_id 0
		.amdhsa_user_sgpr_flat_scratch_init 0
		.amdhsa_user_sgpr_private_segment_size 0
		.amdhsa_wavefront_size32 1
		.amdhsa_uses_dynamic_stack 0
		.amdhsa_system_sgpr_private_segment_wavefront_offset 0
		.amdhsa_system_sgpr_workgroup_id_x 1
		.amdhsa_system_sgpr_workgroup_id_y 0
		.amdhsa_system_sgpr_workgroup_id_z 0
		.amdhsa_system_sgpr_workgroup_info 0
		.amdhsa_system_vgpr_workitem_id 0
		.amdhsa_next_free_vgpr 12
		.amdhsa_next_free_sgpr 8
		.amdhsa_reserve_vcc 1
		.amdhsa_reserve_flat_scratch 0
		.amdhsa_float_round_mode_32 0
		.amdhsa_float_round_mode_16_64 0
		.amdhsa_float_denorm_mode_32 3
		.amdhsa_float_denorm_mode_16_64 3
		.amdhsa_dx10_clamp 1
		.amdhsa_ieee_mode 1
		.amdhsa_fp16_overflow 0
		.amdhsa_workgroup_processor_mode 1
		.amdhsa_memory_ordered 1
		.amdhsa_forward_progress 1
		.amdhsa_shared_vgpr_count 0
		.amdhsa_exception_fp_ieee_invalid_op 0
		.amdhsa_exception_fp_denorm_src 0
		.amdhsa_exception_fp_ieee_div_zero 0
		.amdhsa_exception_fp_ieee_overflow 0
		.amdhsa_exception_fp_ieee_underflow 0
		.amdhsa_exception_fp_ieee_inexact 0
		.amdhsa_exception_int_div_zero 0
	.end_amdhsa_kernel
	.section	.text._Z13fp32_cvt_e5m2IhfEvPT_PKT0_i,"axG",@progbits,_Z13fp32_cvt_e5m2IhfEvPT_PKT0_i,comdat
.Lfunc_end3:
	.size	_Z13fp32_cvt_e5m2IhfEvPT_PKT0_i, .Lfunc_end3-_Z13fp32_cvt_e5m2IhfEvPT_PKT0_i
                                        ; -- End function
	.set _Z13fp32_cvt_e5m2IhfEvPT_PKT0_i.num_vgpr, 12
	.set _Z13fp32_cvt_e5m2IhfEvPT_PKT0_i.num_agpr, 0
	.set _Z13fp32_cvt_e5m2IhfEvPT_PKT0_i.numbered_sgpr, 8
	.set _Z13fp32_cvt_e5m2IhfEvPT_PKT0_i.num_named_barrier, 0
	.set _Z13fp32_cvt_e5m2IhfEvPT_PKT0_i.private_seg_size, 0
	.set _Z13fp32_cvt_e5m2IhfEvPT_PKT0_i.uses_vcc, 1
	.set _Z13fp32_cvt_e5m2IhfEvPT_PKT0_i.uses_flat_scratch, 0
	.set _Z13fp32_cvt_e5m2IhfEvPT_PKT0_i.has_dyn_sized_stack, 0
	.set _Z13fp32_cvt_e5m2IhfEvPT_PKT0_i.has_recursion, 0
	.set _Z13fp32_cvt_e5m2IhfEvPT_PKT0_i.has_indirect_call, 0
	.section	.AMDGPU.csdata,"",@progbits
; Kernel info:
; codeLenInByte = 584
; TotalNumSgprs: 10
; NumVgprs: 12
; ScratchSize: 0
; MemoryBound: 0
; FloatMode: 240
; IeeeMode: 1
; LDSByteSize: 0 bytes/workgroup (compile time only)
; SGPRBlocks: 0
; VGPRBlocks: 1
; NumSGPRsForWavesPerEU: 10
; NumVGPRsForWavesPerEU: 12
; Occupancy: 16
; WaveLimiterHint : 0
; COMPUTE_PGM_RSRC2:SCRATCH_EN: 0
; COMPUTE_PGM_RSRC2:USER_SGPR: 6
; COMPUTE_PGM_RSRC2:TRAP_HANDLER: 0
; COMPUTE_PGM_RSRC2:TGID_X_EN: 1
; COMPUTE_PGM_RSRC2:TGID_Y_EN: 0
; COMPUTE_PGM_RSRC2:TGID_Z_EN: 0
; COMPUTE_PGM_RSRC2:TIDIG_COMP_CNT: 0
	.section	.AMDGPU.gpr_maximums,"",@progbits
	.set amdgpu.max_num_vgpr, 0
	.set amdgpu.max_num_agpr, 0
	.set amdgpu.max_num_sgpr, 0
	.section	.AMDGPU.csdata,"",@progbits
	.type	__hip_cuid_1fac4c818862eb03,@object ; @__hip_cuid_1fac4c818862eb03
	.section	.bss,"aw",@nobits
	.globl	__hip_cuid_1fac4c818862eb03
__hip_cuid_1fac4c818862eb03:
	.byte	0                               ; 0x0
	.size	__hip_cuid_1fac4c818862eb03, 1

	.ident	"AMD clang version 22.0.0git (https://github.com/RadeonOpenCompute/llvm-project roc-7.2.4 26084 f58b06dce1f9c15707c5f808fd002e18c2accf7e)"
	.section	".note.GNU-stack","",@progbits
	.addrsig
	.addrsig_sym __hip_cuid_1fac4c818862eb03
	.amdgpu_metadata
---
amdhsa.kernels:
  - .args:
      - .actual_access:  write_only
        .address_space:  global
        .offset:         0
        .size:           8
        .value_kind:     global_buffer
      - .actual_access:  read_only
        .address_space:  global
        .offset:         8
        .size:           8
        .value_kind:     global_buffer
      - .offset:         16
        .size:           4
        .value_kind:     by_value
      - .offset:         24
        .size:           4
        .value_kind:     hidden_block_count_x
      - .offset:         28
        .size:           4
        .value_kind:     hidden_block_count_y
      - .offset:         32
        .size:           4
        .value_kind:     hidden_block_count_z
      - .offset:         36
        .size:           2
        .value_kind:     hidden_group_size_x
      - .offset:         38
        .size:           2
        .value_kind:     hidden_group_size_y
      - .offset:         40
        .size:           2
        .value_kind:     hidden_group_size_z
      - .offset:         42
        .size:           2
        .value_kind:     hidden_remainder_x
      - .offset:         44
        .size:           2
        .value_kind:     hidden_remainder_y
      - .offset:         46
        .size:           2
        .value_kind:     hidden_remainder_z
      - .offset:         64
        .size:           8
        .value_kind:     hidden_global_offset_x
      - .offset:         72
        .size:           8
        .value_kind:     hidden_global_offset_y
      - .offset:         80
        .size:           8
        .value_kind:     hidden_global_offset_z
      - .offset:         88
        .size:           2
        .value_kind:     hidden_grid_dims
    .group_segment_fixed_size: 0
    .kernarg_segment_align: 8
    .kernarg_segment_size: 280
    .language:       OpenCL C
    .language_version:
      - 2
      - 0
    .max_flat_workgroup_size: 1024
    .name:           _Z21ref_fp32_cvt_e4m3fnuzIhfEvPT_PKT0_i
    .private_segment_fixed_size: 0
    .sgpr_count:     9
    .sgpr_spill_count: 0
    .symbol:         _Z21ref_fp32_cvt_e4m3fnuzIhfEvPT_PKT0_i.kd
    .uniform_work_group_size: 1
    .uses_dynamic_stack: false
    .vgpr_count:     5
    .vgpr_spill_count: 0
    .wavefront_size: 32
    .workgroup_processor_mode: 1
  - .args:
      - .actual_access:  write_only
        .address_space:  global
        .offset:         0
        .size:           8
        .value_kind:     global_buffer
      - .actual_access:  read_only
        .address_space:  global
        .offset:         8
        .size:           8
        .value_kind:     global_buffer
      - .offset:         16
        .size:           4
        .value_kind:     by_value
      - .offset:         24
        .size:           4
        .value_kind:     hidden_block_count_x
      - .offset:         28
        .size:           4
        .value_kind:     hidden_block_count_y
      - .offset:         32
        .size:           4
        .value_kind:     hidden_block_count_z
      - .offset:         36
        .size:           2
        .value_kind:     hidden_group_size_x
      - .offset:         38
        .size:           2
        .value_kind:     hidden_group_size_y
      - .offset:         40
        .size:           2
        .value_kind:     hidden_group_size_z
      - .offset:         42
        .size:           2
        .value_kind:     hidden_remainder_x
      - .offset:         44
        .size:           2
        .value_kind:     hidden_remainder_y
      - .offset:         46
        .size:           2
        .value_kind:     hidden_remainder_z
      - .offset:         64
        .size:           8
        .value_kind:     hidden_global_offset_x
      - .offset:         72
        .size:           8
        .value_kind:     hidden_global_offset_y
      - .offset:         80
        .size:           8
        .value_kind:     hidden_global_offset_z
      - .offset:         88
        .size:           2
        .value_kind:     hidden_grid_dims
    .group_segment_fixed_size: 0
    .kernarg_segment_align: 8
    .kernarg_segment_size: 280
    .language:       OpenCL C
    .language_version:
      - 2
      - 0
    .max_flat_workgroup_size: 1024
    .name:           _Z13fp32_cvt_e4m3IhfEvPT_PKT0_i
    .private_segment_fixed_size: 0
    .sgpr_count:     10
    .sgpr_spill_count: 0
    .symbol:         _Z13fp32_cvt_e4m3IhfEvPT_PKT0_i.kd
    .uniform_work_group_size: 1
    .uses_dynamic_stack: false
    .vgpr_count:     12
    .vgpr_spill_count: 0
    .wavefront_size: 32
    .workgroup_processor_mode: 1
  - .args:
      - .actual_access:  write_only
        .address_space:  global
        .offset:         0
        .size:           8
        .value_kind:     global_buffer
      - .actual_access:  read_only
        .address_space:  global
        .offset:         8
        .size:           8
        .value_kind:     global_buffer
      - .offset:         16
        .size:           4
        .value_kind:     by_value
      - .offset:         24
        .size:           4
        .value_kind:     hidden_block_count_x
      - .offset:         28
        .size:           4
        .value_kind:     hidden_block_count_y
      - .offset:         32
        .size:           4
        .value_kind:     hidden_block_count_z
      - .offset:         36
        .size:           2
        .value_kind:     hidden_group_size_x
      - .offset:         38
        .size:           2
        .value_kind:     hidden_group_size_y
      - .offset:         40
        .size:           2
        .value_kind:     hidden_group_size_z
      - .offset:         42
        .size:           2
        .value_kind:     hidden_remainder_x
      - .offset:         44
        .size:           2
        .value_kind:     hidden_remainder_y
      - .offset:         46
        .size:           2
        .value_kind:     hidden_remainder_z
      - .offset:         64
        .size:           8
        .value_kind:     hidden_global_offset_x
      - .offset:         72
        .size:           8
        .value_kind:     hidden_global_offset_y
      - .offset:         80
        .size:           8
        .value_kind:     hidden_global_offset_z
      - .offset:         88
        .size:           2
        .value_kind:     hidden_grid_dims
    .group_segment_fixed_size: 0
    .kernarg_segment_align: 8
    .kernarg_segment_size: 280
    .language:       OpenCL C
    .language_version:
      - 2
      - 0
    .max_flat_workgroup_size: 1024
    .name:           _Z21ref_fp32_cvt_e5m2fnuzIhfEvPT_PKT0_i
    .private_segment_fixed_size: 0
    .sgpr_count:     9
    .sgpr_spill_count: 0
    .symbol:         _Z21ref_fp32_cvt_e5m2fnuzIhfEvPT_PKT0_i.kd
    .uniform_work_group_size: 1
    .uses_dynamic_stack: false
    .vgpr_count:     5
    .vgpr_spill_count: 0
    .wavefront_size: 32
    .workgroup_processor_mode: 1
  - .args:
      - .actual_access:  write_only
        .address_space:  global
        .offset:         0
        .size:           8
        .value_kind:     global_buffer
      - .actual_access:  read_only
        .address_space:  global
        .offset:         8
        .size:           8
        .value_kind:     global_buffer
      - .offset:         16
        .size:           4
        .value_kind:     by_value
      - .offset:         24
        .size:           4
        .value_kind:     hidden_block_count_x
      - .offset:         28
        .size:           4
        .value_kind:     hidden_block_count_y
      - .offset:         32
        .size:           4
        .value_kind:     hidden_block_count_z
      - .offset:         36
        .size:           2
        .value_kind:     hidden_group_size_x
      - .offset:         38
        .size:           2
        .value_kind:     hidden_group_size_y
      - .offset:         40
        .size:           2
        .value_kind:     hidden_group_size_z
      - .offset:         42
        .size:           2
        .value_kind:     hidden_remainder_x
      - .offset:         44
        .size:           2
        .value_kind:     hidden_remainder_y
      - .offset:         46
        .size:           2
        .value_kind:     hidden_remainder_z
      - .offset:         64
        .size:           8
        .value_kind:     hidden_global_offset_x
      - .offset:         72
        .size:           8
        .value_kind:     hidden_global_offset_y
      - .offset:         80
        .size:           8
        .value_kind:     hidden_global_offset_z
      - .offset:         88
        .size:           2
        .value_kind:     hidden_grid_dims
    .group_segment_fixed_size: 0
    .kernarg_segment_align: 8
    .kernarg_segment_size: 280
    .language:       OpenCL C
    .language_version:
      - 2
      - 0
    .max_flat_workgroup_size: 1024
    .name:           _Z13fp32_cvt_e5m2IhfEvPT_PKT0_i
    .private_segment_fixed_size: 0
    .sgpr_count:     10
    .sgpr_spill_count: 0
    .symbol:         _Z13fp32_cvt_e5m2IhfEvPT_PKT0_i.kd
    .uniform_work_group_size: 1
    .uses_dynamic_stack: false
    .vgpr_count:     12
    .vgpr_spill_count: 0
    .wavefront_size: 32
    .workgroup_processor_mode: 1
amdhsa.target:   amdgcn-amd-amdhsa--gfx1030
amdhsa.version:
  - 1
  - 2
...

	.end_amdgpu_metadata
